;; amdgpu-corpus repo=ROCm/rocFFT kind=compiled arch=gfx1201 opt=O3
	.text
	.amdgcn_target "amdgcn-amd-amdhsa--gfx1201"
	.amdhsa_code_object_version 6
	.protected	fft_rtc_back_len588_factors_7_3_4_7_wgs_252_tpt_84_sp_op_CI_CI_unitstride_sbrr_R2C_dirReg ; -- Begin function fft_rtc_back_len588_factors_7_3_4_7_wgs_252_tpt_84_sp_op_CI_CI_unitstride_sbrr_R2C_dirReg
	.globl	fft_rtc_back_len588_factors_7_3_4_7_wgs_252_tpt_84_sp_op_CI_CI_unitstride_sbrr_R2C_dirReg
	.p2align	8
	.type	fft_rtc_back_len588_factors_7_3_4_7_wgs_252_tpt_84_sp_op_CI_CI_unitstride_sbrr_R2C_dirReg,@function
fft_rtc_back_len588_factors_7_3_4_7_wgs_252_tpt_84_sp_op_CI_CI_unitstride_sbrr_R2C_dirReg: ; @fft_rtc_back_len588_factors_7_3_4_7_wgs_252_tpt_84_sp_op_CI_CI_unitstride_sbrr_R2C_dirReg
; %bb.0:
	s_load_b128 s[8:11], s[0:1], 0x0
	v_mul_u32_u24_e32 v1, 0x30d, v0
	s_clause 0x1
	s_load_b128 s[4:7], s[0:1], 0x58
	s_load_b128 s[12:15], s[0:1], 0x18
	v_mov_b32_e32 v5, 0
	v_lshrrev_b32_e32 v3, 16, v1
	v_mov_b32_e32 v1, 0
	v_mov_b32_e32 v2, 0
	s_delay_alu instid0(VALU_DEP_3) | instskip(NEXT) | instid1(VALU_DEP_2)
	v_mad_co_u64_u32 v[3:4], null, ttmp9, 3, v[3:4]
	v_dual_mov_b32 v4, v5 :: v_dual_mov_b32 v15, v2
	s_delay_alu instid0(VALU_DEP_1) | instskip(NEXT) | instid1(VALU_DEP_3)
	v_dual_mov_b32 v14, v1 :: v_dual_mov_b32 v17, v4
	v_mov_b32_e32 v16, v3
	s_wait_kmcnt 0x0
	v_cmp_lt_u64_e64 s2, s[10:11], 2
	s_delay_alu instid0(VALU_DEP_1)
	s_and_b32 vcc_lo, exec_lo, s2
	s_cbranch_vccnz .LBB0_8
; %bb.1:
	s_load_b64 s[2:3], s[0:1], 0x10
	v_dual_mov_b32 v1, 0 :: v_dual_mov_b32 v8, v4
	v_dual_mov_b32 v2, 0 :: v_dual_mov_b32 v7, v3
	s_add_nc_u64 s[16:17], s[14:15], 8
	s_add_nc_u64 s[18:19], s[12:13], 8
	s_mov_b64 s[20:21], 1
	s_delay_alu instid0(VALU_DEP_1)
	v_dual_mov_b32 v15, v2 :: v_dual_mov_b32 v14, v1
	s_wait_kmcnt 0x0
	s_add_nc_u64 s[22:23], s[2:3], 8
	s_mov_b32 s3, 0
.LBB0_2:                                ; =>This Inner Loop Header: Depth=1
	s_load_b64 s[24:25], s[22:23], 0x0
                                        ; implicit-def: $vgpr16_vgpr17
	s_mov_b32 s2, exec_lo
	s_wait_kmcnt 0x0
	v_or_b32_e32 v6, s25, v8
	s_delay_alu instid0(VALU_DEP_1)
	v_cmpx_ne_u64_e32 0, v[5:6]
	s_wait_alu 0xfffe
	s_xor_b32 s26, exec_lo, s2
	s_cbranch_execz .LBB0_4
; %bb.3:                                ;   in Loop: Header=BB0_2 Depth=1
	s_cvt_f32_u32 s2, s24
	s_cvt_f32_u32 s27, s25
	s_sub_nc_u64 s[30:31], 0, s[24:25]
	s_wait_alu 0xfffe
	s_delay_alu instid0(SALU_CYCLE_1) | instskip(SKIP_1) | instid1(SALU_CYCLE_2)
	s_fmamk_f32 s2, s27, 0x4f800000, s2
	s_wait_alu 0xfffe
	v_s_rcp_f32 s2, s2
	s_delay_alu instid0(TRANS32_DEP_1) | instskip(SKIP_1) | instid1(SALU_CYCLE_2)
	s_mul_f32 s2, s2, 0x5f7ffffc
	s_wait_alu 0xfffe
	s_mul_f32 s27, s2, 0x2f800000
	s_wait_alu 0xfffe
	s_delay_alu instid0(SALU_CYCLE_2) | instskip(SKIP_1) | instid1(SALU_CYCLE_2)
	s_trunc_f32 s27, s27
	s_wait_alu 0xfffe
	s_fmamk_f32 s2, s27, 0xcf800000, s2
	s_cvt_u32_f32 s29, s27
	s_wait_alu 0xfffe
	s_delay_alu instid0(SALU_CYCLE_1) | instskip(SKIP_1) | instid1(SALU_CYCLE_2)
	s_cvt_u32_f32 s28, s2
	s_wait_alu 0xfffe
	s_mul_u64 s[34:35], s[30:31], s[28:29]
	s_wait_alu 0xfffe
	s_mul_hi_u32 s37, s28, s35
	s_mul_i32 s36, s28, s35
	s_mul_hi_u32 s2, s28, s34
	s_mul_i32 s33, s29, s34
	s_wait_alu 0xfffe
	s_add_nc_u64 s[36:37], s[2:3], s[36:37]
	s_mul_hi_u32 s27, s29, s34
	s_mul_hi_u32 s38, s29, s35
	s_add_co_u32 s2, s36, s33
	s_wait_alu 0xfffe
	s_add_co_ci_u32 s2, s37, s27
	s_mul_i32 s34, s29, s35
	s_add_co_ci_u32 s35, s38, 0
	s_wait_alu 0xfffe
	s_add_nc_u64 s[34:35], s[2:3], s[34:35]
	s_wait_alu 0xfffe
	v_add_co_u32 v4, s2, s28, s34
	s_delay_alu instid0(VALU_DEP_1) | instskip(SKIP_1) | instid1(VALU_DEP_1)
	s_cmp_lg_u32 s2, 0
	s_add_co_ci_u32 s29, s29, s35
	v_readfirstlane_b32 s28, v4
	s_wait_alu 0xfffe
	s_delay_alu instid0(VALU_DEP_1)
	s_mul_u64 s[30:31], s[30:31], s[28:29]
	s_wait_alu 0xfffe
	s_mul_hi_u32 s35, s28, s31
	s_mul_i32 s34, s28, s31
	s_mul_hi_u32 s2, s28, s30
	s_mul_i32 s33, s29, s30
	s_wait_alu 0xfffe
	s_add_nc_u64 s[34:35], s[2:3], s[34:35]
	s_mul_hi_u32 s27, s29, s30
	s_mul_hi_u32 s28, s29, s31
	s_wait_alu 0xfffe
	s_add_co_u32 s2, s34, s33
	s_add_co_ci_u32 s2, s35, s27
	s_mul_i32 s30, s29, s31
	s_add_co_ci_u32 s31, s28, 0
	s_wait_alu 0xfffe
	s_add_nc_u64 s[30:31], s[2:3], s[30:31]
	s_wait_alu 0xfffe
	v_add_co_u32 v4, s2, v4, s30
	s_delay_alu instid0(VALU_DEP_1) | instskip(SKIP_1) | instid1(VALU_DEP_1)
	s_cmp_lg_u32 s2, 0
	s_add_co_ci_u32 s2, s29, s31
	v_mul_hi_u32 v6, v7, v4
	s_wait_alu 0xfffe
	v_mad_co_u64_u32 v[9:10], null, v7, s2, 0
	v_mad_co_u64_u32 v[11:12], null, v8, v4, 0
	;; [unrolled: 1-line block ×3, first 2 shown]
	s_delay_alu instid0(VALU_DEP_3) | instskip(SKIP_1) | instid1(VALU_DEP_4)
	v_add_co_u32 v4, vcc_lo, v6, v9
	s_wait_alu 0xfffd
	v_add_co_ci_u32_e32 v6, vcc_lo, 0, v10, vcc_lo
	s_delay_alu instid0(VALU_DEP_2) | instskip(SKIP_1) | instid1(VALU_DEP_2)
	v_add_co_u32 v4, vcc_lo, v4, v11
	s_wait_alu 0xfffd
	v_add_co_ci_u32_e32 v4, vcc_lo, v6, v12, vcc_lo
	s_wait_alu 0xfffd
	v_add_co_ci_u32_e32 v6, vcc_lo, 0, v17, vcc_lo
	s_delay_alu instid0(VALU_DEP_2) | instskip(SKIP_1) | instid1(VALU_DEP_2)
	v_add_co_u32 v4, vcc_lo, v4, v16
	s_wait_alu 0xfffd
	v_add_co_ci_u32_e32 v6, vcc_lo, 0, v6, vcc_lo
	s_delay_alu instid0(VALU_DEP_2) | instskip(SKIP_1) | instid1(VALU_DEP_3)
	v_mul_lo_u32 v11, s25, v4
	v_mad_co_u64_u32 v[9:10], null, s24, v4, 0
	v_mul_lo_u32 v12, s24, v6
	s_delay_alu instid0(VALU_DEP_2) | instskip(NEXT) | instid1(VALU_DEP_2)
	v_sub_co_u32 v9, vcc_lo, v7, v9
	v_add3_u32 v10, v10, v12, v11
	s_delay_alu instid0(VALU_DEP_1) | instskip(SKIP_1) | instid1(VALU_DEP_1)
	v_sub_nc_u32_e32 v11, v8, v10
	s_wait_alu 0xfffd
	v_subrev_co_ci_u32_e64 v11, s2, s25, v11, vcc_lo
	v_add_co_u32 v12, s2, v4, 2
	s_wait_alu 0xf1ff
	v_add_co_ci_u32_e64 v13, s2, 0, v6, s2
	v_sub_co_u32 v16, s2, v9, s24
	v_sub_co_ci_u32_e32 v10, vcc_lo, v8, v10, vcc_lo
	s_wait_alu 0xf1ff
	v_subrev_co_ci_u32_e64 v11, s2, 0, v11, s2
	s_delay_alu instid0(VALU_DEP_3) | instskip(NEXT) | instid1(VALU_DEP_3)
	v_cmp_le_u32_e32 vcc_lo, s24, v16
	v_cmp_eq_u32_e64 s2, s25, v10
	s_wait_alu 0xfffd
	v_cndmask_b32_e64 v16, 0, -1, vcc_lo
	v_cmp_le_u32_e32 vcc_lo, s25, v11
	s_wait_alu 0xfffd
	v_cndmask_b32_e64 v17, 0, -1, vcc_lo
	v_cmp_le_u32_e32 vcc_lo, s24, v9
	;; [unrolled: 3-line block ×3, first 2 shown]
	s_wait_alu 0xfffd
	v_cndmask_b32_e64 v18, 0, -1, vcc_lo
	v_cmp_eq_u32_e32 vcc_lo, s25, v11
	s_wait_alu 0xf1ff
	s_delay_alu instid0(VALU_DEP_2)
	v_cndmask_b32_e64 v9, v18, v9, s2
	s_wait_alu 0xfffd
	v_cndmask_b32_e32 v11, v17, v16, vcc_lo
	v_add_co_u32 v16, vcc_lo, v4, 1
	s_wait_alu 0xfffd
	v_add_co_ci_u32_e32 v17, vcc_lo, 0, v6, vcc_lo
	s_delay_alu instid0(VALU_DEP_3) | instskip(SKIP_1) | instid1(VALU_DEP_2)
	v_cmp_ne_u32_e32 vcc_lo, 0, v11
	s_wait_alu 0xfffd
	v_dual_cndmask_b32 v10, v17, v13 :: v_dual_cndmask_b32 v11, v16, v12
	v_cmp_ne_u32_e32 vcc_lo, 0, v9
	s_wait_alu 0xfffd
	s_delay_alu instid0(VALU_DEP_2)
	v_dual_cndmask_b32 v17, v6, v10 :: v_dual_cndmask_b32 v16, v4, v11
.LBB0_4:                                ;   in Loop: Header=BB0_2 Depth=1
	s_wait_alu 0xfffe
	s_and_not1_saveexec_b32 s2, s26
	s_cbranch_execz .LBB0_6
; %bb.5:                                ;   in Loop: Header=BB0_2 Depth=1
	v_cvt_f32_u32_e32 v4, s24
	s_sub_co_i32 s26, 0, s24
	v_mov_b32_e32 v17, v5
	s_delay_alu instid0(VALU_DEP_2) | instskip(NEXT) | instid1(TRANS32_DEP_1)
	v_rcp_iflag_f32_e32 v4, v4
	v_mul_f32_e32 v4, 0x4f7ffffe, v4
	s_delay_alu instid0(VALU_DEP_1) | instskip(SKIP_1) | instid1(VALU_DEP_1)
	v_cvt_u32_f32_e32 v4, v4
	s_wait_alu 0xfffe
	v_mul_lo_u32 v6, s26, v4
	s_delay_alu instid0(VALU_DEP_1) | instskip(NEXT) | instid1(VALU_DEP_1)
	v_mul_hi_u32 v6, v4, v6
	v_add_nc_u32_e32 v4, v4, v6
	s_delay_alu instid0(VALU_DEP_1) | instskip(NEXT) | instid1(VALU_DEP_1)
	v_mul_hi_u32 v4, v7, v4
	v_mul_lo_u32 v6, v4, s24
	s_delay_alu instid0(VALU_DEP_1) | instskip(NEXT) | instid1(VALU_DEP_1)
	v_sub_nc_u32_e32 v6, v7, v6
	v_subrev_nc_u32_e32 v10, s24, v6
	v_cmp_le_u32_e32 vcc_lo, s24, v6
	s_wait_alu 0xfffd
	s_delay_alu instid0(VALU_DEP_2) | instskip(NEXT) | instid1(VALU_DEP_1)
	v_dual_cndmask_b32 v6, v6, v10 :: v_dual_add_nc_u32 v9, 1, v4
	v_cndmask_b32_e32 v4, v4, v9, vcc_lo
	s_delay_alu instid0(VALU_DEP_2) | instskip(NEXT) | instid1(VALU_DEP_2)
	v_cmp_le_u32_e32 vcc_lo, s24, v6
	v_add_nc_u32_e32 v9, 1, v4
	s_wait_alu 0xfffd
	s_delay_alu instid0(VALU_DEP_1)
	v_cndmask_b32_e32 v16, v4, v9, vcc_lo
.LBB0_6:                                ;   in Loop: Header=BB0_2 Depth=1
	s_wait_alu 0xfffe
	s_or_b32 exec_lo, exec_lo, s2
	v_mul_lo_u32 v4, v17, s24
	s_delay_alu instid0(VALU_DEP_2)
	v_mul_lo_u32 v6, v16, s25
	s_load_b64 s[26:27], s[18:19], 0x0
	v_mad_co_u64_u32 v[9:10], null, v16, s24, 0
	s_load_b64 s[24:25], s[16:17], 0x0
	s_add_nc_u64 s[20:21], s[20:21], 1
	s_add_nc_u64 s[16:17], s[16:17], 8
	s_wait_alu 0xfffe
	v_cmp_ge_u64_e64 s2, s[20:21], s[10:11]
	s_add_nc_u64 s[18:19], s[18:19], 8
	s_add_nc_u64 s[22:23], s[22:23], 8
	v_add3_u32 v4, v10, v6, v4
	v_sub_co_u32 v6, vcc_lo, v7, v9
	s_wait_alu 0xfffd
	s_delay_alu instid0(VALU_DEP_2) | instskip(SKIP_2) | instid1(VALU_DEP_1)
	v_sub_co_ci_u32_e32 v4, vcc_lo, v8, v4, vcc_lo
	s_and_b32 vcc_lo, exec_lo, s2
	s_wait_kmcnt 0x0
	v_mul_lo_u32 v7, s26, v4
	v_mul_lo_u32 v8, s27, v6
	v_mad_co_u64_u32 v[1:2], null, s26, v6, v[1:2]
	v_mul_lo_u32 v4, s24, v4
	v_mul_lo_u32 v9, s25, v6
	v_mad_co_u64_u32 v[14:15], null, s24, v6, v[14:15]
	s_delay_alu instid0(VALU_DEP_4) | instskip(NEXT) | instid1(VALU_DEP_2)
	v_add3_u32 v2, v8, v2, v7
	v_add3_u32 v15, v9, v15, v4
	s_wait_alu 0xfffe
	s_cbranch_vccnz .LBB0_8
; %bb.7:                                ;   in Loop: Header=BB0_2 Depth=1
	v_dual_mov_b32 v7, v16 :: v_dual_mov_b32 v8, v17
	s_branch .LBB0_2
.LBB0_8:
	s_load_b64 s[0:1], s[0:1], 0x28
	v_mul_hi_u32 v4, 0xaaaaaaab, v3
	s_lshl_b64 s[10:11], s[10:11], 3
                                        ; implicit-def: $vgpr18
                                        ; implicit-def: $vgpr20
                                        ; implicit-def: $vgpr22
	s_delay_alu instid0(VALU_DEP_1) | instskip(NEXT) | instid1(VALU_DEP_1)
	v_lshrrev_b32_e32 v4, 1, v4
	v_lshl_add_u32 v5, v4, 1, v4
	v_mul_hi_u32 v4, 0x30c30c4, v0
	s_delay_alu instid0(VALU_DEP_2) | instskip(SKIP_3) | instid1(VALU_DEP_1)
	v_sub_nc_u32_e32 v3, v3, v5
	s_wait_kmcnt 0x0
	v_cmp_gt_u64_e32 vcc_lo, s[0:1], v[16:17]
	v_cmp_le_u64_e64 s0, s[0:1], v[16:17]
	s_and_saveexec_b32 s1, s0
	s_wait_alu 0xfffe
	s_xor_b32 s0, exec_lo, s1
; %bb.9:
	v_mul_u32_u24_e32 v1, 0x54, v4
                                        ; implicit-def: $vgpr4
	s_delay_alu instid0(VALU_DEP_1) | instskip(NEXT) | instid1(VALU_DEP_1)
	v_sub_nc_u32_e32 v18, v0, v1
                                        ; implicit-def: $vgpr0
                                        ; implicit-def: $vgpr1_vgpr2
	v_add_nc_u32_e32 v20, 0x54, v18
	v_add_nc_u32_e32 v22, 0xa8, v18
; %bb.10:
	s_wait_alu 0xfffe
	s_or_saveexec_b32 s1, s0
	v_mul_u32_u24_e32 v3, 0x24d, v3
	s_add_nc_u64 s[2:3], s[14:15], s[10:11]
	s_delay_alu instid0(VALU_DEP_1)
	v_lshlrev_b32_e32 v30, 3, v3
	s_wait_alu 0xfffe
	s_xor_b32 exec_lo, exec_lo, s1
	s_cbranch_execz .LBB0_12
; %bb.11:
	s_add_nc_u64 s[10:11], s[12:13], s[10:11]
	v_lshlrev_b64_e32 v[1:2], 3, v[1:2]
	s_load_b64 s[10:11], s[10:11], 0x0
	s_wait_kmcnt 0x0
	v_mul_lo_u32 v3, s11, v16
	v_mul_lo_u32 v7, s10, v17
	v_mad_co_u64_u32 v[5:6], null, s10, v16, 0
	s_delay_alu instid0(VALU_DEP_1) | instskip(SKIP_1) | instid1(VALU_DEP_2)
	v_add3_u32 v6, v6, v7, v3
	v_mul_u32_u24_e32 v7, 0x54, v4
	v_lshlrev_b64_e32 v[3:4], 3, v[5:6]
	s_delay_alu instid0(VALU_DEP_2) | instskip(NEXT) | instid1(VALU_DEP_1)
	v_sub_nc_u32_e32 v18, v0, v7
	v_lshlrev_b32_e32 v19, 3, v18
	s_delay_alu instid0(VALU_DEP_3) | instskip(SKIP_1) | instid1(VALU_DEP_4)
	v_add_co_u32 v0, s0, s4, v3
	s_wait_alu 0xf1ff
	v_add_co_ci_u32_e64 v3, s0, s5, v4, s0
	v_add_nc_u32_e32 v20, 0x54, v18
	s_delay_alu instid0(VALU_DEP_3) | instskip(SKIP_1) | instid1(VALU_DEP_3)
	v_add_co_u32 v0, s0, v0, v1
	s_wait_alu 0xf1ff
	v_add_co_ci_u32_e64 v1, s0, v3, v2, s0
	v_add_nc_u32_e32 v22, 0xa8, v18
	s_delay_alu instid0(VALU_DEP_3) | instskip(SKIP_1) | instid1(VALU_DEP_3)
	v_add_co_u32 v0, s0, v0, v19
	s_wait_alu 0xf1ff
	v_add_co_ci_u32_e64 v1, s0, 0, v1, s0
	s_clause 0x6
	global_load_b64 v[2:3], v[0:1], off
	global_load_b64 v[4:5], v[0:1], off offset:672
	global_load_b64 v[6:7], v[0:1], off offset:1344
	;; [unrolled: 1-line block ×6, first 2 shown]
	v_add3_u32 v19, 0, v30, v19
	s_delay_alu instid0(VALU_DEP_1)
	v_add_nc_u32_e32 v21, 0x800, v19
	s_wait_loadcnt 0x5
	ds_store_2addr_b64 v19, v[2:3], v[4:5] offset1:84
	s_wait_loadcnt 0x3
	ds_store_2addr_b64 v19, v[6:7], v[8:9] offset0:168 offset1:252
	s_wait_loadcnt 0x1
	ds_store_2addr_b64 v21, v[10:11], v[12:13] offset0:80 offset1:164
	s_wait_loadcnt 0x0
	ds_store_b64 v19, v[0:1] offset:4032
.LBB0_12:
	s_or_b32 exec_lo, exec_lo, s1
	v_lshlrev_b32_e32 v19, 3, v18
	s_load_b64 s[2:3], s[2:3], 0x0
	global_wb scope:SCOPE_SE
	s_wait_dscnt 0x0
	s_wait_kmcnt 0x0
	s_barrier_signal -1
	s_barrier_wait -1
	v_add3_u32 v21, 0, v19, v30
	global_inv scope:SCOPE_SE
	v_cmp_gt_u32_e64 s0, 28, v18
	v_add_nc_u32_e32 v31, 0x800, v21
	ds_load_2addr_b64 v[0:3], v21 offset0:84 offset1:168
	ds_load_2addr_b64 v[4:7], v31 offset0:164 offset1:248
	v_add_nc_u32_e32 v32, 0x400, v21
	v_add_nc_u32_e32 v27, 0, v30
	s_wait_dscnt 0x0
	v_add_f32_e32 v23, v0, v6
	ds_load_2addr_b64 v[8:11], v32 offset0:124 offset1:208
	v_add_f32_e32 v24, v1, v7
	v_sub_f32_e32 v0, v0, v6
	v_dual_add_f32 v6, v2, v4 :: v_dual_sub_f32 v1, v1, v7
	v_dual_sub_f32 v2, v2, v4 :: v_dual_add_f32 v7, v3, v5
	s_wait_dscnt 0x0
	v_dual_sub_f32 v3, v3, v5 :: v_dual_add_f32 v4, v8, v10
	v_sub_f32_e32 v8, v10, v8
	v_add_nc_u32_e32 v28, v27, v19
	v_dual_add_f32 v5, v9, v11 :: v_dual_sub_f32 v26, v7, v24
	v_dual_sub_f32 v9, v11, v9 :: v_dual_add_f32 v10, v6, v23
	s_delay_alu instid0(VALU_DEP_4)
	v_add_f32_e32 v29, v8, v2
	ds_load_b64 v[12:13], v28
	v_dual_add_f32 v11, v7, v24 :: v_dual_sub_f32 v24, v24, v5
	v_dual_sub_f32 v25, v6, v23 :: v_dual_sub_f32 v6, v4, v6
	v_dual_sub_f32 v23, v23, v4 :: v_dual_sub_f32 v34, v8, v2
	;; [unrolled: 1-line block ×3, first 2 shown]
	v_dual_add_f32 v33, v9, v3 :: v_dual_sub_f32 v2, v2, v0
	v_dual_sub_f32 v35, v9, v3 :: v_dual_add_f32 v4, v4, v10
	v_add_f32_e32 v5, v5, v11
	v_dual_sub_f32 v9, v1, v9 :: v_dual_mul_f32 v24, 0x3f4a47b2, v24
	v_dual_sub_f32 v3, v3, v1 :: v_dual_add_f32 v10, v29, v0
	v_add_f32_e32 v11, v33, v1
	global_wb scope:SCOPE_SE
	s_wait_dscnt 0x0
	v_add_f32_e32 v0, v12, v4
	v_dual_mul_f32 v12, 0x3d64c772, v6 :: v_dual_add_f32 v1, v13, v5
	s_barrier_signal -1
	s_barrier_wait -1
	s_delay_alu instid0(VALU_DEP_2) | instskip(NEXT) | instid1(VALU_DEP_2)
	v_fmamk_f32 v4, v4, 0xbf955555, v0
	v_fma_f32 v12, 0x3f3bfb3b, v25, -v12
	v_mul_f32_e32 v29, 0x3f08b237, v34
	v_mul_f32_e32 v34, 0xbf5ff5aa, v2
	v_fmamk_f32 v5, v5, 0xbf955555, v1
	v_mul_f32_e32 v23, 0x3f4a47b2, v23
	v_mul_f32_e32 v13, 0x3d64c772, v7
	global_inv scope:SCOPE_SE
	v_fma_f32 v34, 0x3eae86e6, v8, -v34
	v_fmamk_f32 v6, v6, 0x3d64c772, v23
	v_fma_f32 v13, 0x3f3bfb3b, v26, -v13
	s_delay_alu instid0(VALU_DEP_3) | instskip(NEXT) | instid1(VALU_DEP_3)
	v_fmac_f32_e32 v34, 0xbee1c552, v10
	v_add_f32_e32 v36, v6, v4
	v_fma_f32 v23, 0xbf3bfb3b, v25, -v23
	v_mul_f32_e32 v33, 0x3f08b237, v35
	v_fmamk_f32 v25, v8, 0xbeae86e6, v29
	v_dual_add_f32 v8, v12, v4 :: v_dual_fmamk_f32 v7, v7, 0x3d64c772, v24
	v_fma_f32 v24, 0xbf3bfb3b, v26, -v24
	v_add_f32_e32 v12, v23, v4
	v_fmamk_f32 v26, v9, 0xbeae86e6, v33
	v_fma_f32 v33, 0xbf5ff5aa, v3, -v33
	v_fma_f32 v29, 0xbf5ff5aa, v2, -v29
	s_delay_alu instid0(VALU_DEP_2) | instskip(NEXT) | instid1(VALU_DEP_1)
	v_fmac_f32_e32 v33, 0xbee1c552, v11
	v_dual_fmac_f32 v29, 0xbee1c552, v10 :: v_dual_sub_f32 v6, v8, v33
	v_dual_add_f32 v37, v7, v5 :: v_dual_fmac_f32 v26, 0xbee1c552, v11
	v_dual_mul_f32 v35, 0xbf5ff5aa, v3 :: v_dual_add_f32 v8, v33, v8
	s_delay_alu instid0(VALU_DEP_2) | instskip(NEXT) | instid1(VALU_DEP_2)
	v_add_f32_e32 v2, v36, v26
	v_fma_f32 v35, 0x3eae86e6, v9, -v35
	v_add_f32_e32 v9, v13, v5
	v_add_f32_e32 v13, v24, v5
	v_sub_f32_e32 v23, v36, v26
	s_delay_alu instid0(VALU_DEP_4) | instskip(NEXT) | instid1(VALU_DEP_4)
	v_fmac_f32_e32 v35, 0xbee1c552, v11
	v_add_f32_e32 v7, v29, v9
	s_delay_alu instid0(VALU_DEP_4)
	v_sub_f32_e32 v5, v13, v34
	v_sub_f32_e32 v9, v9, v29
	v_lshl_add_u32 v29, v20, 3, v27
	v_dual_add_f32 v4, v35, v12 :: v_dual_fmac_f32 v25, 0xbee1c552, v10
	v_sub_f32_e32 v10, v12, v35
	v_mad_u32_u24 v12, v18, 48, v21
	v_add_f32_e32 v11, v34, v13
                                        ; implicit-def: $vgpr13
	s_delay_alu instid0(VALU_DEP_4)
	v_sub_f32_e32 v3, v37, v25
	v_add_f32_e32 v24, v25, v37
	ds_store_2addr_b64 v12, v[0:1], v[2:3] offset1:1
	ds_store_2addr_b64 v12, v[4:5], v[6:7] offset0:2 offset1:3
	ds_store_2addr_b64 v12, v[8:9], v[10:11] offset0:4 offset1:5
	ds_store_b64 v12, v[23:24] offset:48
	global_wb scope:SCOPE_SE
	s_wait_dscnt 0x0
	s_barrier_signal -1
	s_barrier_wait -1
	global_inv scope:SCOPE_SE
	ds_load_b64 v[25:26], v28
	ds_load_b64 v[0:1], v29
	s_wait_dscnt 0x1
	ds_load_b32 v26, v28 offset:4
	ds_load_2addr_b64 v[6:9], v32 offset0:68 offset1:152
	ds_load_2addr_b64 v[2:5], v31 offset0:136 offset1:220
	v_lshlrev_b32_e32 v31, 3, v22
	s_and_saveexec_b32 s1, s0
	s_cbranch_execz .LBB0_14
; %bb.13:
	s_delay_alu instid0(VALU_DEP_1)
	v_add3_u32 v10, 0, v31, v30
	v_add_nc_u32_e32 v11, 0xa00, v21
	ds_load_b64 v[23:24], v10
	ds_load_2addr_b64 v[10:13], v11 offset0:44 offset1:240
.LBB0_14:
	s_wait_alu 0xfffe
	s_or_b32 exec_lo, exec_lo, s1
	v_and_b32_e32 v33, 0xff, v18
	v_and_b32_e32 v32, 0xff, v20
	;; [unrolled: 1-line block ×3, first 2 shown]
	s_delay_alu instid0(VALU_DEP_3) | instskip(NEXT) | instid1(VALU_DEP_3)
	v_mul_lo_u16 v34, v33, 37
	v_mul_lo_u16 v36, v32, 37
	s_delay_alu instid0(VALU_DEP_3) | instskip(NEXT) | instid1(VALU_DEP_3)
	v_mul_lo_u16 v35, v35, 37
	v_lshrrev_b16 v34, 8, v34
	s_delay_alu instid0(VALU_DEP_3) | instskip(NEXT) | instid1(VALU_DEP_3)
	v_lshrrev_b16 v36, 8, v36
	v_lshrrev_b16 v35, 8, v35
	s_delay_alu instid0(VALU_DEP_3) | instskip(NEXT) | instid1(VALU_DEP_3)
	v_sub_nc_u16 v37, v18, v34
	v_sub_nc_u16 v38, v20, v36
	s_delay_alu instid0(VALU_DEP_3) | instskip(NEXT) | instid1(VALU_DEP_3)
	v_sub_nc_u16 v39, v22, v35
	v_lshrrev_b16 v37, 1, v37
	s_delay_alu instid0(VALU_DEP_3) | instskip(NEXT) | instid1(VALU_DEP_3)
	v_lshrrev_b16 v38, 1, v38
	v_lshrrev_b16 v39, 1, v39
	s_delay_alu instid0(VALU_DEP_3) | instskip(NEXT) | instid1(VALU_DEP_3)
	v_and_b32_e32 v37, 0x7f, v37
	v_and_b32_e32 v38, 0x7f, v38
	s_delay_alu instid0(VALU_DEP_2) | instskip(NEXT) | instid1(VALU_DEP_4)
	v_add_nc_u16 v34, v37, v34
	v_and_b32_e32 v37, 0x7f, v39
	s_delay_alu instid0(VALU_DEP_3) | instskip(NEXT) | instid1(VALU_DEP_3)
	v_add_nc_u16 v36, v38, v36
	v_lshrrev_b16 v48, 2, v34
	s_delay_alu instid0(VALU_DEP_3) | instskip(NEXT) | instid1(VALU_DEP_3)
	v_add_nc_u16 v34, v37, v35
	v_lshrrev_b16 v49, 2, v36
	s_delay_alu instid0(VALU_DEP_3) | instskip(NEXT) | instid1(VALU_DEP_3)
	v_mul_lo_u16 v35, v48, 7
	v_lshrrev_b16 v34, 2, v34
	s_delay_alu instid0(VALU_DEP_3) | instskip(NEXT) | instid1(VALU_DEP_3)
	v_mul_lo_u16 v36, v49, 7
	v_sub_nc_u16 v35, v18, v35
	s_delay_alu instid0(VALU_DEP_3) | instskip(NEXT) | instid1(VALU_DEP_3)
	v_mul_lo_u16 v37, v34, 7
	v_sub_nc_u16 v36, v20, v36
	s_delay_alu instid0(VALU_DEP_3) | instskip(NEXT) | instid1(VALU_DEP_3)
	v_and_b32_e32 v50, 0xff, v35
	v_sub_nc_u16 v35, v22, v37
	s_delay_alu instid0(VALU_DEP_3) | instskip(NEXT) | instid1(VALU_DEP_3)
	v_and_b32_e32 v51, 0xff, v36
	v_lshlrev_b32_e32 v36, 4, v50
	s_delay_alu instid0(VALU_DEP_3) | instskip(NEXT) | instid1(VALU_DEP_3)
	v_and_b32_e32 v35, 0xff, v35
	v_lshlrev_b32_e32 v40, 4, v51
	global_load_b128 v[36:39], v36, s[8:9]
	v_lshlrev_b32_e32 v44, 4, v35
	s_clause 0x1
	global_load_b128 v[40:43], v40, s[8:9]
	global_load_b128 v[44:47], v44, s[8:9]
	v_and_b32_e32 v48, 0xffff, v48
	global_wb scope:SCOPE_SE
	s_wait_loadcnt_dscnt 0x0
	s_barrier_signal -1
	s_barrier_wait -1
	global_inv scope:SCOPE_SE
	v_mul_f32_e32 v52, v41, v9
	v_mul_f32_e32 v54, v11, v45
	;; [unrolled: 1-line block ×3, first 2 shown]
	v_and_b32_e32 v49, 0xffff, v49
	v_mad_u32_u24 v48, 0xa8, v48, 0
	v_fmac_f32_e32 v52, v40, v8
	v_dual_fmac_f32 v54, v10, v44 :: v_dual_lshlrev_b32 v51, 3, v51
	s_delay_alu instid0(VALU_DEP_4)
	v_mad_u32_u24 v49, 0xa8, v49, 0
	v_mul_f32_e32 v41, v41, v8
	v_mul_f32_e32 v53, v43, v5
	;; [unrolled: 1-line block ×4, first 2 shown]
	v_add3_u32 v49, v49, v51, v30
	v_mul_f32_e32 v51, v39, v3
	v_mul_f32_e32 v39, v39, v2
	v_dual_mul_f32 v47, v12, v47 :: v_dual_lshlrev_b32 v50, 3, v50
	v_fma_f32 v8, v42, v5, -v43
	s_delay_alu instid0(VALU_DEP_4) | instskip(NEXT) | instid1(VALU_DEP_4)
	v_fmac_f32_e32 v51, v38, v2
	v_fma_f32 v2, v38, v3, -v39
	s_delay_alu instid0(VALU_DEP_4) | instskip(SKIP_4) | instid1(VALU_DEP_4)
	v_add3_u32 v48, v48, v50, v30
	v_mul_f32_e32 v50, v37, v7
	v_mul_f32_e32 v37, v37, v6
	v_fma_f32 v3, v40, v9, -v41
	v_fma_f32 v5, v11, v44, -v45
	v_dual_fmac_f32 v53, v42, v4 :: v_dual_fmac_f32 v50, v36, v6
	s_delay_alu instid0(VALU_DEP_4) | instskip(NEXT) | instid1(VALU_DEP_4)
	v_fma_f32 v6, v36, v7, -v37
	v_add_f32_e32 v40, v1, v3
	v_add_f32_e32 v42, v23, v54
	v_fma_f32 v9, v13, v46, -v47
	s_delay_alu instid0(VALU_DEP_4)
	v_dual_add_f32 v44, v24, v5 :: v_dual_sub_f32 v11, v6, v2
	v_add_f32_e32 v7, v50, v25
	v_add_f32_e32 v13, v6, v2
	v_dual_fmac_f32 v55, v12, v46 :: v_dual_add_f32 v10, v50, v51
	v_add_f32_e32 v12, v26, v6
	v_sub_f32_e32 v4, v5, v9
	v_dual_sub_f32 v38, v50, v51 :: v_dual_add_f32 v37, v52, v53
	v_add_f32_e32 v6, v7, v51
	v_dual_sub_f32 v39, v3, v8 :: v_dual_fmac_f32 v26, -0.5, v13
	v_add_f32_e32 v36, v0, v52
	v_add_f32_e32 v3, v3, v8
	;; [unrolled: 1-line block ×3, first 2 shown]
	v_fma_f32 v0, -0.5, v37, v0
	v_fmamk_f32 v37, v38, 0x3f5db3d7, v26
	v_dual_fmac_f32 v26, 0xbf5db3d7, v38 :: v_dual_add_f32 v43, v54, v55
	s_delay_alu instid0(VALU_DEP_4)
	v_fmac_f32_e32 v24, -0.5, v45
	v_sub_f32_e32 v41, v52, v53
	v_sub_f32_e32 v5, v54, v55
	v_fmac_f32_e32 v25, -0.5, v10
	v_add_f32_e32 v7, v12, v2
	v_dual_add_f32 v12, v36, v53 :: v_dual_fmac_f32 v1, -0.5, v3
	v_fmac_f32_e32 v23, -0.5, v43
	v_dual_add_f32 v13, v40, v8 :: v_dual_add_f32 v2, v42, v55
	v_dual_add_f32 v3, v44, v9 :: v_dual_fmamk_f32 v8, v39, 0xbf5db3d7, v0
	v_fmac_f32_e32 v0, 0x3f5db3d7, v39
	v_fmamk_f32 v36, v11, 0xbf5db3d7, v25
	v_fmac_f32_e32 v25, 0x3f5db3d7, v11
	v_fmamk_f32 v9, v41, 0x3f5db3d7, v1
	v_fmac_f32_e32 v1, 0xbf5db3d7, v41
	v_fmamk_f32 v10, v4, 0xbf5db3d7, v23
	v_fmamk_f32 v11, v5, 0x3f5db3d7, v24
	ds_store_2addr_b64 v48, v[6:7], v[36:37] offset1:7
	ds_store_b64 v48, v[25:26] offset:112
	ds_store_2addr_b64 v49, v[12:13], v[8:9] offset1:7
	ds_store_b64 v49, v[0:1] offset:112
	s_and_saveexec_b32 s1, s0
	s_cbranch_execz .LBB0_16
; %bb.15:
	v_dual_mul_f32 v5, 0x3f5db3d7, v5 :: v_dual_mul_f32 v4, 0x3f5db3d7, v4
	v_and_b32_e32 v6, 0xffff, v34
	v_lshlrev_b32_e32 v7, 3, v35
	s_delay_alu instid0(VALU_DEP_3) | instskip(NEXT) | instid1(VALU_DEP_4)
	v_sub_f32_e32 v5, v24, v5
	v_add_f32_e32 v4, v4, v23
	s_delay_alu instid0(VALU_DEP_4) | instskip(NEXT) | instid1(VALU_DEP_1)
	v_mad_u32_u24 v6, 0xa8, v6, 0
	v_add3_u32 v6, v6, v7, v30
	ds_store_2addr_b64 v6, v[2:3], v[10:11] offset1:7
	ds_store_b64 v6, v[4:5] offset:112
.LBB0_16:
	s_wait_alu 0xfffe
	s_or_b32 exec_lo, exec_lo, s1
	v_add_nc_u32_e32 v25, 0x400, v21
	global_wb scope:SCOPE_SE
	s_wait_dscnt 0x0
	s_barrier_signal -1
	s_barrier_wait -1
	global_inv scope:SCOPE_SE
	ds_load_2addr_b64 v[4:7], v25 offset0:19 offset1:166
	ds_load_b64 v[12:13], v28
	ds_load_b64 v[23:24], v21 offset:3528
	v_cmp_gt_u32_e64 s0, 63, v18
	s_delay_alu instid0(VALU_DEP_1)
	s_and_saveexec_b32 s1, s0
	s_cbranch_execz .LBB0_18
; %bb.17:
	ds_load_2addr_b64 v[0:3], v25 offset0:103 offset1:250
	ds_load_b64 v[8:9], v29
	ds_load_b64 v[10:11], v21 offset:4200
.LBB0_18:
	s_wait_alu 0xfffe
	s_or_b32 exec_lo, exec_lo, s1
	v_mul_lo_u16 v25, 0x87, v33
	s_delay_alu instid0(VALU_DEP_1) | instskip(NEXT) | instid1(VALU_DEP_1)
	v_lshrrev_b16 v25, 8, v25
	v_sub_nc_u16 v26, v18, v25
	s_delay_alu instid0(VALU_DEP_1) | instskip(NEXT) | instid1(VALU_DEP_1)
	v_lshrrev_b16 v26, 1, v26
	v_and_b32_e32 v26, 0x7f, v26
	s_delay_alu instid0(VALU_DEP_1) | instskip(NEXT) | instid1(VALU_DEP_1)
	v_add_nc_u16 v25, v26, v25
	v_lshrrev_b16 v25, 4, v25
	s_delay_alu instid0(VALU_DEP_1) | instskip(NEXT) | instid1(VALU_DEP_1)
	v_and_b32_e32 v37, 15, v25
	v_mul_lo_u16 v25, v37, 21
	s_delay_alu instid0(VALU_DEP_1) | instskip(NEXT) | instid1(VALU_DEP_1)
	v_sub_nc_u16 v25, v18, v25
	v_and_b32_e32 v38, 0xff, v25
	s_delay_alu instid0(VALU_DEP_1) | instskip(NEXT) | instid1(VALU_DEP_1)
	v_mul_u32_u24_e32 v25, 3, v38
	v_lshlrev_b32_e32 v25, 3, v25
	s_clause 0x1
	global_load_b128 v[33:36], v25, s[8:9] offset:112
	global_load_b64 v[25:26], v25, s[8:9] offset:128
	global_wb scope:SCOPE_SE
	s_wait_loadcnt_dscnt 0x0
	s_barrier_signal -1
	s_barrier_wait -1
	global_inv scope:SCOPE_SE
	v_dual_mul_f32 v40, v36, v7 :: v_dual_mul_f32 v39, v34, v5
	v_mul_f32_e32 v34, v34, v4
	v_dual_mul_f32 v36, v36, v6 :: v_dual_mul_f32 v41, v26, v24
	s_delay_alu instid0(VALU_DEP_3) | instskip(NEXT) | instid1(VALU_DEP_3)
	v_dual_mul_f32 v26, v26, v23 :: v_dual_fmac_f32 v39, v33, v4
	v_fma_f32 v4, v33, v5, -v34
	s_delay_alu instid0(VALU_DEP_3) | instskip(NEXT) | instid1(VALU_DEP_4)
	v_dual_fmac_f32 v40, v35, v6 :: v_dual_fmac_f32 v41, v25, v23
	v_fma_f32 v5, v35, v7, -v36
	v_and_b32_e32 v7, 0xffff, v37
	v_fma_f32 v6, v25, v24, -v26
	s_delay_alu instid0(VALU_DEP_3) | instskip(NEXT) | instid1(VALU_DEP_2)
	v_dual_sub_f32 v23, v12, v40 :: v_dual_sub_f32 v24, v13, v5
	v_dual_sub_f32 v5, v39, v41 :: v_dual_sub_f32 v6, v4, v6
	s_delay_alu instid0(VALU_DEP_4) | instskip(NEXT) | instid1(VALU_DEP_3)
	v_mad_u32_u24 v25, 0x2a0, v7, 0
	v_fma_f32 v26, v12, 2.0, -v23
	s_delay_alu instid0(VALU_DEP_4) | instskip(NEXT) | instid1(VALU_DEP_4)
	v_fma_f32 v33, v13, 2.0, -v24
	v_fma_f32 v7, v39, 2.0, -v5
	;; [unrolled: 1-line block ×3, first 2 shown]
	v_lshlrev_b32_e32 v13, 3, v38
	v_dual_add_f32 v4, v23, v6 :: v_dual_sub_f32 v5, v24, v5
	s_delay_alu instid0(VALU_DEP_3) | instskip(NEXT) | instid1(VALU_DEP_3)
	v_dual_sub_f32 v6, v26, v7 :: v_dual_sub_f32 v7, v33, v12
	v_add3_u32 v25, v25, v13, v30
	s_delay_alu instid0(VALU_DEP_3) | instskip(NEXT) | instid1(VALU_DEP_4)
	v_fma_f32 v12, v23, 2.0, -v4
	v_fma_f32 v13, v24, 2.0, -v5
	s_delay_alu instid0(VALU_DEP_4)
	v_fma_f32 v23, v26, 2.0, -v6
	v_fma_f32 v24, v33, 2.0, -v7
	ds_store_2addr_b64 v25, v[23:24], v[12:13] offset1:21
	ds_store_2addr_b64 v25, v[6:7], v[4:5] offset0:42 offset1:63
	s_and_saveexec_b32 s1, s0
	s_cbranch_execz .LBB0_20
; %bb.19:
	v_mul_lo_u16 v4, 0x87, v32
	s_delay_alu instid0(VALU_DEP_1) | instskip(NEXT) | instid1(VALU_DEP_1)
	v_lshrrev_b16 v4, 8, v4
	v_sub_nc_u16 v5, v20, v4
	s_delay_alu instid0(VALU_DEP_1) | instskip(NEXT) | instid1(VALU_DEP_1)
	v_lshrrev_b16 v5, 1, v5
	v_and_b32_e32 v5, 0x7f, v5
	s_delay_alu instid0(VALU_DEP_1) | instskip(NEXT) | instid1(VALU_DEP_1)
	v_add_nc_u16 v4, v5, v4
	v_lshrrev_b16 v4, 4, v4
	s_delay_alu instid0(VALU_DEP_1) | instskip(NEXT) | instid1(VALU_DEP_1)
	v_and_b32_e32 v23, 15, v4
	v_mul_lo_u16 v4, v23, 21
	s_delay_alu instid0(VALU_DEP_1) | instskip(NEXT) | instid1(VALU_DEP_1)
	v_sub_nc_u16 v4, v20, v4
	v_and_b32_e32 v24, 0xff, v4
	s_delay_alu instid0(VALU_DEP_1) | instskip(NEXT) | instid1(VALU_DEP_1)
	v_mul_u32_u24_e32 v4, 3, v24
	v_lshlrev_b32_e32 v12, 3, v4
	s_clause 0x1
	global_load_b128 v[4:7], v12, s[8:9] offset:112
	global_load_b64 v[12:13], v12, s[8:9] offset:128
	s_wait_loadcnt 0x1
	v_dual_mul_f32 v25, v2, v7 :: v_dual_mul_f32 v26, v1, v5
	v_mul_f32_e32 v5, v0, v5
	v_mul_f32_e32 v7, v3, v7
	s_wait_loadcnt 0x0
	v_mul_f32_e32 v32, v11, v13
	v_mul_f32_e32 v13, v10, v13
	v_fma_f32 v3, v3, v6, -v25
	v_fmac_f32_e32 v26, v0, v4
	v_fma_f32 v0, v1, v4, -v5
	v_dual_fmac_f32 v7, v2, v6 :: v_dual_and_b32 v2, 0xffff, v23
	v_fma_f32 v1, v11, v12, -v13
	v_fmac_f32_e32 v32, v10, v12
	v_sub_f32_e32 v4, v9, v3
	s_delay_alu instid0(VALU_DEP_4)
	v_sub_f32_e32 v6, v8, v7
	v_mad_u32_u24 v5, 0x2a0, v2, 0
	v_sub_f32_e32 v3, v0, v1
	v_sub_f32_e32 v1, v26, v32
	v_fma_f32 v7, v9, 2.0, -v4
	v_fma_f32 v8, v8, 2.0, -v6
	v_lshlrev_b32_e32 v10, 3, v24
	v_fma_f32 v2, v0, 2.0, -v3
	v_fma_f32 v9, v26, 2.0, -v1
	v_dual_sub_f32 v1, v4, v1 :: v_dual_add_f32 v0, v6, v3
	s_delay_alu instid0(VALU_DEP_2) | instskip(SKIP_1) | instid1(VALU_DEP_3)
	v_dual_sub_f32 v3, v7, v2 :: v_dual_sub_f32 v2, v8, v9
	v_add3_u32 v9, v5, v10, v30
	v_fma_f32 v5, v4, 2.0, -v1
	s_delay_alu instid0(VALU_DEP_4) | instskip(NEXT) | instid1(VALU_DEP_4)
	v_fma_f32 v4, v6, 2.0, -v0
	v_fma_f32 v7, v7, 2.0, -v3
	;; [unrolled: 1-line block ×3, first 2 shown]
	ds_store_2addr_b64 v9, v[6:7], v[4:5] offset1:21
	ds_store_2addr_b64 v9, v[2:3], v[0:1] offset0:42 offset1:63
.LBB0_20:
	s_wait_alu 0xfffe
	s_or_b32 exec_lo, exec_lo, s1
	v_mul_u32_u24_e32 v0, 6, v18
	global_wb scope:SCOPE_SE
	s_wait_dscnt 0x0
	s_barrier_signal -1
	s_barrier_wait -1
	global_inv scope:SCOPE_SE
	v_lshlrev_b32_e32 v8, 3, v0
	v_add3_u32 v23, 0, v31, v30
	s_mov_b32 s1, exec_lo
	s_clause 0x2
	global_load_b128 v[0:3], v8, s[8:9] offset:616
	global_load_b128 v[4:7], v8, s[8:9] offset:632
	;; [unrolled: 1-line block ×3, first 2 shown]
	ds_load_b64 v[12:13], v29
	ds_load_b64 v[34:35], v23
	v_add_nc_u32_e32 v24, 0x400, v21
	v_add_nc_u32_e32 v38, 0x800, v21
	s_wait_loadcnt_dscnt 0x201
	v_mul_f32_e32 v39, v1, v13
	s_wait_dscnt 0x0
	v_dual_mul_f32 v1, v1, v12 :: v_dual_mul_f32 v40, v3, v35
	v_mul_f32_e32 v3, v3, v34
	ds_load_2addr_b64 v[23:26], v24 offset0:124 offset1:208
	ds_load_2addr_b64 v[30:33], v38 offset0:164 offset1:248
	ds_load_b64 v[36:37], v28
	global_wb scope:SCOPE_SE
	s_wait_loadcnt_dscnt 0x0
	s_barrier_signal -1
	s_barrier_wait -1
	global_inv scope:SCOPE_SE
	v_mul_f32_e32 v41, v5, v24
	v_dual_mul_f32 v5, v5, v23 :: v_dual_mul_f32 v42, v7, v26
	v_dual_mul_f32 v7, v7, v25 :: v_dual_fmac_f32 v40, v2, v34
	v_dual_mul_f32 v43, v9, v31 :: v_dual_mul_f32 v44, v11, v33
	s_delay_alu instid0(VALU_DEP_3) | instskip(NEXT) | instid1(VALU_DEP_2)
	v_dual_mul_f32 v9, v9, v30 :: v_dual_fmac_f32 v42, v6, v25
	v_dual_fmac_f32 v41, v4, v23 :: v_dual_fmac_f32 v44, v10, v32
	v_fmac_f32_e32 v39, v0, v12
	v_fma_f32 v0, v0, v13, -v1
	s_delay_alu instid0(VALU_DEP_3)
	v_dual_sub_f32 v12, v42, v41 :: v_dual_mul_f32 v11, v11, v32
	v_fma_f32 v1, v2, v35, -v3
	v_fma_f32 v2, v4, v24, -v5
	;; [unrolled: 1-line block ×5, first 2 shown]
	v_dual_fmac_f32 v43, v8, v30 :: v_dual_add_f32 v6, v39, v44
	s_delay_alu instid0(VALU_DEP_4) | instskip(NEXT) | instid1(VALU_DEP_4)
	v_add_f32_e32 v11, v2, v4
	v_add_f32_e32 v9, v1, v5
	v_dual_sub_f32 v1, v1, v5 :: v_dual_sub_f32 v2, v4, v2
	v_dual_add_f32 v7, v0, v3 :: v_dual_sub_f32 v8, v39, v44
	v_dual_sub_f32 v0, v0, v3 :: v_dual_add_f32 v5, v41, v42
	s_delay_alu instid0(VALU_DEP_3) | instskip(SKIP_1) | instid1(VALU_DEP_4)
	v_dual_add_f32 v26, v2, v1 :: v_dual_add_f32 v3, v40, v43
	v_sub_f32_e32 v10, v40, v43
	v_add_f32_e32 v13, v9, v7
	v_sub_f32_e32 v24, v9, v7
	v_sub_f32_e32 v32, v1, v0
	v_add_f32_e32 v4, v3, v6
	v_sub_f32_e32 v30, v12, v10
	v_dual_sub_f32 v23, v3, v6 :: v_dual_sub_f32 v6, v6, v5
	v_sub_f32_e32 v7, v7, v11
	v_sub_f32_e32 v3, v5, v3
	;; [unrolled: 1-line block ×3, first 2 shown]
	v_add_f32_e32 v25, v12, v10
	v_dual_sub_f32 v31, v2, v1 :: v_dual_add_f32 v4, v5, v4
	v_dual_sub_f32 v12, v8, v12 :: v_dual_add_f32 v5, v11, v13
	v_dual_add_f32 v11, v26, v0 :: v_dual_mul_f32 v6, 0x3f4a47b2, v6
	v_dual_mul_f32 v7, 0x3f4a47b2, v7 :: v_dual_sub_f32 v2, v0, v2
	s_delay_alu instid0(VALU_DEP_4)
	v_add_f32_e32 v0, v4, v36
	v_sub_f32_e32 v10, v10, v8
	v_dual_add_f32 v8, v25, v8 :: v_dual_mul_f32 v25, 0x3d64c772, v9
	v_dual_mul_f32 v26, 0x3f08b237, v30 :: v_dual_add_f32 v1, v5, v37
	v_fmamk_f32 v9, v9, 0x3d64c772, v7
	v_mul_f32_e32 v13, 0x3d64c772, v3
	v_fmamk_f32 v3, v3, 0x3d64c772, v6
	v_mul_f32_e32 v30, 0x3f08b237, v31
	v_fma_f32 v25, 0x3f3bfb3b, v24, -v25
	v_fma_f32 v6, 0xbf3bfb3b, v23, -v6
	;; [unrolled: 1-line block ×4, first 2 shown]
	v_fmamk_f32 v23, v12, 0xbeae86e6, v26
	v_fmamk_f32 v24, v2, 0xbeae86e6, v30
	v_mul_f32_e32 v31, 0xbf5ff5aa, v10
	v_fma_f32 v10, 0xbf5ff5aa, v10, -v26
	v_fma_f32 v26, 0xbf5ff5aa, v32, -v30
	s_delay_alu instid0(VALU_DEP_4) | instskip(SKIP_3) | instid1(VALU_DEP_3)
	v_dual_fmac_f32 v23, 0xbee1c552, v8 :: v_dual_fmac_f32 v24, 0xbee1c552, v11
	v_mul_f32_e32 v33, 0xbf5ff5aa, v32
	v_fma_f32 v12, 0x3eae86e6, v12, -v31
	v_fmac_f32_e32 v10, 0xbee1c552, v8
	v_fma_f32 v30, 0x3eae86e6, v2, -v33
	v_fmamk_f32 v2, v4, 0xbf955555, v0
	v_fmamk_f32 v4, v5, 0xbf955555, v1
	v_fmac_f32_e32 v12, 0xbee1c552, v8
	v_fmac_f32_e32 v26, 0xbee1c552, v11
	;; [unrolled: 1-line block ×3, first 2 shown]
	v_add_f32_e32 v8, v13, v2
	v_add_f32_e32 v11, v6, v2
	;; [unrolled: 1-line block ×3, first 2 shown]
	s_delay_alu instid0(VALU_DEP_1) | instskip(SKIP_4) | instid1(VALU_DEP_3)
	v_dual_sub_f32 v5, v13, v12 :: v_dual_sub_f32 v6, v8, v26
	v_add_f32_e32 v8, v26, v8
	v_add_f32_e32 v32, v9, v4
	;; [unrolled: 1-line block ×4, first 2 shown]
	v_sub_f32_e32 v3, v32, v23
	s_delay_alu instid0(VALU_DEP_3) | instskip(NEXT) | instid1(VALU_DEP_3)
	v_add_f32_e32 v7, v10, v9
	v_dual_sub_f32 v9, v9, v10 :: v_dual_add_f32 v2, v24, v31
	v_add_f32_e32 v4, v30, v11
	v_dual_sub_f32 v10, v11, v30 :: v_dual_add_f32 v11, v12, v13
	v_sub_f32_e32 v12, v31, v24
	v_add_f32_e32 v13, v23, v32
	ds_store_2addr_b64 v21, v[0:1], v[2:3] offset1:84
	ds_store_2addr_b64 v21, v[4:5], v[6:7] offset0:168 offset1:252
	ds_store_2addr_b64 v38, v[8:9], v[10:11] offset0:80 offset1:164
	ds_store_b64 v21, v[12:13] offset:4032
	global_wb scope:SCOPE_SE
	s_wait_dscnt 0x0
	s_barrier_signal -1
	s_barrier_wait -1
	global_inv scope:SCOPE_SE
	ds_load_b64 v[0:1], v28
	v_sub_nc_u32_e32 v2, v27, v19
                                        ; implicit-def: $vgpr4
                                        ; implicit-def: $vgpr3
	v_cmpx_ne_u32_e32 0, v18
	s_wait_alu 0xfffe
	s_xor_b32 s1, exec_lo, s1
	s_cbranch_execz .LBB0_22
; %bb.21:
	ds_load_b64 v[6:7], v2 offset:4704
	s_wait_dscnt 0x0
	v_dual_mov_b32 v19, 0 :: v_dual_add_f32 v8, v7, v1
	s_delay_alu instid0(VALU_DEP_1) | instskip(NEXT) | instid1(VALU_DEP_2)
	v_lshlrev_b64_e32 v[3:4], 3, v[18:19]
	v_dual_sub_f32 v1, v1, v7 :: v_dual_mul_f32 v8, 0.5, v8
	s_delay_alu instid0(VALU_DEP_2) | instskip(SKIP_1) | instid1(VALU_DEP_3)
	v_add_co_u32 v3, s0, s8, v3
	s_wait_alu 0xf1ff
	v_add_co_ci_u32_e64 v4, s0, s9, v4, s0
	global_load_b64 v[4:5], v[3:4], off offset:4648
	v_dual_sub_f32 v3, v0, v6 :: v_dual_add_f32 v0, v6, v0
	s_delay_alu instid0(VALU_DEP_1) | instskip(SKIP_1) | instid1(VALU_DEP_1)
	v_mul_f32_e32 v7, 0.5, v3
	s_wait_loadcnt 0x0
	v_dual_mul_f32 v1, 0.5, v1 :: v_dual_mul_f32 v6, v5, v7
	s_delay_alu instid0(VALU_DEP_1) | instskip(SKIP_1) | instid1(VALU_DEP_3)
	v_fma_f32 v9, v8, v5, v1
	v_fma_f32 v1, v8, v5, -v1
	v_fma_f32 v3, 0.5, v0, v6
	v_fma_f32 v0, v0, 0.5, -v6
	s_delay_alu instid0(VALU_DEP_4) | instskip(NEXT) | instid1(VALU_DEP_4)
	v_fma_f32 v5, -v4, v7, v9
	v_fma_f32 v1, -v4, v7, v1
	ds_store_b32 v28, v5 offset:4
	ds_store_b32 v2, v1 offset:4708
	v_fmac_f32_e32 v3, v4, v8
	v_fma_f32 v4, -v4, v8, v0
                                        ; implicit-def: $vgpr0_vgpr1
.LBB0_22:
	s_wait_alu 0xfffe
	s_and_not1_saveexec_b32 s0, s1
	s_cbranch_execz .LBB0_24
; %bb.23:
	v_mov_b32_e32 v3, 0
	ds_store_b32 v28, v3 offset:4
	ds_store_b32 v2, v3 offset:4708
	ds_load_b32 v4, v27 offset:2356
	s_wait_dscnt 0x3
	v_add_f32_e32 v3, v0, v1
	s_wait_dscnt 0x0
	v_xor_b32_e32 v5, 0x80000000, v4
	v_sub_f32_e32 v4, v0, v1
	ds_store_b32 v27, v5 offset:2356
.LBB0_24:
	s_wait_alu 0xfffe
	s_or_b32 exec_lo, exec_lo, s0
	v_mov_b32_e32 v21, 0
	s_mov_b32 s1, exec_lo
	s_wait_dscnt 0x0
	s_delay_alu instid0(VALU_DEP_1) | instskip(SKIP_1) | instid1(VALU_DEP_1)
	v_lshlrev_b64_e32 v[0:1], 3, v[20:21]
	v_mov_b32_e32 v23, v21
	v_lshlrev_b64_e32 v[5:6], 3, v[22:23]
	s_delay_alu instid0(VALU_DEP_3) | instskip(SKIP_1) | instid1(VALU_DEP_4)
	v_add_co_u32 v0, s0, s8, v0
	s_wait_alu 0xf1ff
	v_add_co_ci_u32_e64 v1, s0, s9, v1, s0
	s_delay_alu instid0(VALU_DEP_3)
	v_add_co_u32 v5, s0, s8, v5
	global_load_b64 v[0:1], v[0:1], off offset:4648
	s_wait_alu 0xf1ff
	v_add_co_ci_u32_e64 v6, s0, s9, v6, s0
	global_load_b64 v[5:6], v[5:6], off offset:4648
	ds_store_b32 v28, v3
	ds_store_b32 v2, v4 offset:4704
	ds_load_b64 v[3:4], v29
	ds_load_b64 v[7:8], v2 offset:4032
	s_wait_dscnt 0x0
	v_add_f32_e32 v10, v4, v8
	v_dual_sub_f32 v4, v4, v8 :: v_dual_sub_f32 v9, v3, v7
	s_delay_alu instid0(VALU_DEP_1) | instskip(NEXT) | instid1(VALU_DEP_2)
	v_mul_f32_e32 v4, 0.5, v4
	v_dual_mul_f32 v8, 0.5, v9 :: v_dual_mul_f32 v9, 0.5, v10
	s_wait_loadcnt 0x1
	s_delay_alu instid0(VALU_DEP_1) | instskip(NEXT) | instid1(VALU_DEP_2)
	v_dual_add_f32 v7, v3, v7 :: v_dual_mul_f32 v10, v1, v8
	v_fma_f32 v11, v9, v1, v4
	v_fma_f32 v1, v9, v1, -v4
	s_delay_alu instid0(VALU_DEP_3) | instskip(SKIP_1) | instid1(VALU_DEP_4)
	v_fma_f32 v3, 0.5, v7, v10
	v_fma_f32 v7, v7, 0.5, -v10
	v_fma_f32 v4, -v0, v8, v11
	s_delay_alu instid0(VALU_DEP_4) | instskip(NEXT) | instid1(VALU_DEP_4)
	v_fma_f32 v1, -v0, v8, v1
	v_fmac_f32_e32 v3, v0, v9
	s_delay_alu instid0(VALU_DEP_4)
	v_fma_f32 v0, -v0, v9, v7
	v_lshl_add_u32 v7, v22, 3, v27
	ds_store_b64 v29, v[3:4]
	ds_store_b64 v2, v[0:1] offset:4032
	ds_load_b64 v[0:1], v7
	ds_load_b64 v[3:4], v2 offset:3360
	s_wait_dscnt 0x0
	v_dual_sub_f32 v8, v0, v3 :: v_dual_add_f32 v9, v1, v4
	v_sub_f32_e32 v1, v1, v4
	s_delay_alu instid0(VALU_DEP_2) | instskip(SKIP_1) | instid1(VALU_DEP_1)
	v_dual_add_f32 v3, v0, v3 :: v_dual_mul_f32 v4, 0.5, v8
	s_wait_loadcnt 0x0
	v_dual_mul_f32 v8, 0.5, v9 :: v_dual_mul_f32 v9, v6, v4
	s_delay_alu instid0(VALU_DEP_1) | instskip(SKIP_2) | instid1(VALU_DEP_3)
	v_fma_f32 v0, 0.5, v3, v9
	v_mul_f32_e32 v1, 0.5, v1
	v_fma_f32 v3, v3, 0.5, -v9
	v_fmac_f32_e32 v0, v5, v8
	s_delay_alu instid0(VALU_DEP_3) | instskip(SKIP_1) | instid1(VALU_DEP_4)
	v_fma_f32 v10, v8, v6, v1
	v_fma_f32 v6, v8, v6, -v1
	v_fma_f32 v3, -v5, v8, v3
	s_delay_alu instid0(VALU_DEP_3) | instskip(NEXT) | instid1(VALU_DEP_3)
	v_fma_f32 v1, -v5, v4, v10
	v_fma_f32 v4, -v5, v4, v6
	ds_store_b64 v7, v[0:1]
	ds_store_b64 v2, v[3:4] offset:3360
	v_cmpx_gt_u32_e32 42, v18
	s_cbranch_execz .LBB0_26
; %bb.25:
	v_mov_b32_e32 v19, v21
	s_add_nc_u64 s[4:5], s[8:9], 0x1228
	s_delay_alu instid0(VALU_DEP_1) | instskip(SKIP_1) | instid1(VALU_DEP_1)
	v_lshlrev_b64_e32 v[0:1], 3, v[18:19]
	s_wait_alu 0xfffe
	v_add_co_u32 v0, s0, s4, v0
	s_wait_alu 0xf1ff
	s_delay_alu instid0(VALU_DEP_2)
	v_add_co_ci_u32_e64 v1, s0, s5, v1, s0
	global_load_b64 v[0:1], v[0:1], off offset:2016
	ds_load_b64 v[3:4], v28 offset:2016
	ds_load_b64 v[5:6], v2 offset:2688
	s_wait_dscnt 0x0
	v_dual_add_f32 v8, v4, v6 :: v_dual_sub_f32 v7, v3, v5
	v_dual_sub_f32 v4, v4, v6 :: v_dual_add_f32 v5, v3, v5
	s_delay_alu instid0(VALU_DEP_2) | instskip(NEXT) | instid1(VALU_DEP_2)
	v_dual_mul_f32 v6, 0.5, v7 :: v_dual_mul_f32 v7, 0.5, v8
	v_mul_f32_e32 v4, 0.5, v4
	s_wait_loadcnt 0x0
	s_delay_alu instid0(VALU_DEP_2) | instskip(NEXT) | instid1(VALU_DEP_2)
	v_mul_f32_e32 v8, v1, v6
	v_fma_f32 v9, v7, v1, v4
	v_fma_f32 v1, v7, v1, -v4
	s_delay_alu instid0(VALU_DEP_3) | instskip(NEXT) | instid1(VALU_DEP_3)
	v_fma_f32 v3, 0.5, v5, v8
	v_fma_f32 v4, -v0, v6, v9
	s_delay_alu instid0(VALU_DEP_3) | instskip(NEXT) | instid1(VALU_DEP_3)
	v_fma_f32 v1, -v0, v6, v1
	v_fmac_f32_e32 v3, v0, v7
	v_fma_f32 v5, v5, 0.5, -v8
	s_delay_alu instid0(VALU_DEP_1)
	v_fma_f32 v0, -v0, v7, v5
	ds_store_b64 v28, v[3:4] offset:2016
	ds_store_b64 v2, v[0:1] offset:2688
.LBB0_26:
	s_wait_alu 0xfffe
	s_or_b32 exec_lo, exec_lo, s1
	global_wb scope:SCOPE_SE
	s_wait_dscnt 0x0
	s_barrier_signal -1
	s_barrier_wait -1
	global_inv scope:SCOPE_SE
	s_and_saveexec_b32 s0, vcc_lo
	s_cbranch_execz .LBB0_29
; %bb.27:
	v_mul_lo_u32 v2, s3, v16
	v_mul_lo_u32 v3, s2, v17
	v_mad_co_u64_u32 v[0:1], null, s2, v16, 0
	v_dual_mov_b32 v19, 0 :: v_dual_add_nc_u32 v24, 0x150, v18
	v_lshlrev_b64_e32 v[7:8], 3, v[14:15]
	v_add_nc_u32_e32 v9, 0x54, v18
	s_delay_alu instid0(VALU_DEP_3)
	v_dual_mov_b32 v12, v19 :: v_dual_add_nc_u32 v11, 0xa8, v18
	v_add3_u32 v1, v1, v3, v2
	v_mov_b32_e32 v10, v19
	v_lshlrev_b64_e32 v[13:14], 3, v[18:19]
	v_lshl_add_u32 v2, v18, 3, v27
	v_lshlrev_b64_e32 v[11:12], 3, v[11:12]
	v_lshlrev_b64_e32 v[0:1], 3, v[0:1]
	;; [unrolled: 1-line block ×3, first 2 shown]
	v_dual_mov_b32 v25, v19 :: v_dual_add_nc_u32 v26, 0x1a4, v18
	v_dual_mov_b32 v27, v19 :: v_dual_add_nc_u32 v30, 0x1f8, v18
	s_delay_alu instid0(VALU_DEP_4)
	v_add_co_u32 v0, vcc_lo, s6, v0
	s_wait_alu 0xfffd
	v_add_co_ci_u32_e32 v1, vcc_lo, s7, v1, vcc_lo
	ds_load_2addr_b64 v[3:6], v2 offset1:84
	v_add_co_u32 v0, vcc_lo, v0, v7
	s_wait_alu 0xfffd
	v_add_co_ci_u32_e32 v1, vcc_lo, v1, v8, vcc_lo
	v_lshlrev_b64_e32 v[24:25], 3, v[24:25]
	s_delay_alu instid0(VALU_DEP_3) | instskip(SKIP_1) | instid1(VALU_DEP_3)
	v_add_co_u32 v15, vcc_lo, v0, v13
	s_wait_alu 0xfffd
	v_add_co_ci_u32_e32 v16, vcc_lo, v1, v14, vcc_lo
	v_add_co_u32 v20, vcc_lo, v0, v9
	v_dual_mov_b32 v14, v19 :: v_dual_add_nc_u32 v13, 0xfc, v18
	s_wait_alu 0xfffd
	v_add_co_ci_u32_e32 v21, vcc_lo, v1, v10, vcc_lo
	v_add_co_u32 v22, vcc_lo, v0, v11
	s_wait_alu 0xfffd
	v_add_co_ci_u32_e32 v23, vcc_lo, v1, v12, vcc_lo
	v_lshlrev_b64_e32 v[11:12], 3, v[13:14]
	v_add_nc_u32_e32 v13, 0x800, v2
	v_mov_b32_e32 v31, v19
	ds_load_2addr_b64 v[7:10], v2 offset0:168 offset1:252
	v_lshlrev_b64_e32 v[26:27], 3, v[26:27]
	ds_load_b64 v[32:33], v2 offset:4032
	v_add_co_u32 v28, vcc_lo, v0, v11
	s_wait_alu 0xfffd
	v_add_co_ci_u32_e32 v29, vcc_lo, v1, v12, vcc_lo
	ds_load_2addr_b64 v[11:14], v13 offset0:80 offset1:164
	v_add_co_u32 v24, vcc_lo, v0, v24
	v_lshlrev_b64_e32 v[30:31], 3, v[30:31]
	s_wait_alu 0xfffd
	v_add_co_ci_u32_e32 v25, vcc_lo, v1, v25, vcc_lo
	v_add_co_u32 v26, vcc_lo, v0, v26
	s_wait_alu 0xfffd
	v_add_co_ci_u32_e32 v27, vcc_lo, v1, v27, vcc_lo
	v_add_co_u32 v30, vcc_lo, v0, v30
	s_wait_alu 0xfffd
	v_add_co_ci_u32_e32 v31, vcc_lo, v1, v31, vcc_lo
	v_cmp_eq_u32_e32 vcc_lo, 0x53, v18
	s_wait_dscnt 0x3
	s_clause 0x1
	global_store_b64 v[15:16], v[3:4], off
	global_store_b64 v[20:21], v[5:6], off
	s_wait_dscnt 0x2
	s_clause 0x1
	global_store_b64 v[22:23], v[7:8], off
	global_store_b64 v[28:29], v[9:10], off
	;; [unrolled: 4-line block ×3, first 2 shown]
	global_store_b64 v[30:31], v[32:33], off
	s_and_b32 exec_lo, exec_lo, vcc_lo
	s_cbranch_execz .LBB0_29
; %bb.28:
	ds_load_b64 v[2:3], v2 offset:4040
	s_wait_dscnt 0x0
	global_store_b64 v[0:1], v[2:3], off offset:4704
.LBB0_29:
	s_nop 0
	s_sendmsg sendmsg(MSG_DEALLOC_VGPRS)
	s_endpgm
	.section	.rodata,"a",@progbits
	.p2align	6, 0x0
	.amdhsa_kernel fft_rtc_back_len588_factors_7_3_4_7_wgs_252_tpt_84_sp_op_CI_CI_unitstride_sbrr_R2C_dirReg
		.amdhsa_group_segment_fixed_size 0
		.amdhsa_private_segment_fixed_size 0
		.amdhsa_kernarg_size 104
		.amdhsa_user_sgpr_count 2
		.amdhsa_user_sgpr_dispatch_ptr 0
		.amdhsa_user_sgpr_queue_ptr 0
		.amdhsa_user_sgpr_kernarg_segment_ptr 1
		.amdhsa_user_sgpr_dispatch_id 0
		.amdhsa_user_sgpr_private_segment_size 0
		.amdhsa_wavefront_size32 1
		.amdhsa_uses_dynamic_stack 0
		.amdhsa_enable_private_segment 0
		.amdhsa_system_sgpr_workgroup_id_x 1
		.amdhsa_system_sgpr_workgroup_id_y 0
		.amdhsa_system_sgpr_workgroup_id_z 0
		.amdhsa_system_sgpr_workgroup_info 0
		.amdhsa_system_vgpr_workitem_id 0
		.amdhsa_next_free_vgpr 56
		.amdhsa_next_free_sgpr 39
		.amdhsa_reserve_vcc 1
		.amdhsa_float_round_mode_32 0
		.amdhsa_float_round_mode_16_64 0
		.amdhsa_float_denorm_mode_32 3
		.amdhsa_float_denorm_mode_16_64 3
		.amdhsa_fp16_overflow 0
		.amdhsa_workgroup_processor_mode 1
		.amdhsa_memory_ordered 1
		.amdhsa_forward_progress 0
		.amdhsa_round_robin_scheduling 0
		.amdhsa_exception_fp_ieee_invalid_op 0
		.amdhsa_exception_fp_denorm_src 0
		.amdhsa_exception_fp_ieee_div_zero 0
		.amdhsa_exception_fp_ieee_overflow 0
		.amdhsa_exception_fp_ieee_underflow 0
		.amdhsa_exception_fp_ieee_inexact 0
		.amdhsa_exception_int_div_zero 0
	.end_amdhsa_kernel
	.text
.Lfunc_end0:
	.size	fft_rtc_back_len588_factors_7_3_4_7_wgs_252_tpt_84_sp_op_CI_CI_unitstride_sbrr_R2C_dirReg, .Lfunc_end0-fft_rtc_back_len588_factors_7_3_4_7_wgs_252_tpt_84_sp_op_CI_CI_unitstride_sbrr_R2C_dirReg
                                        ; -- End function
	.section	.AMDGPU.csdata,"",@progbits
; Kernel info:
; codeLenInByte = 6840
; NumSgprs: 41
; NumVgprs: 56
; ScratchSize: 0
; MemoryBound: 0
; FloatMode: 240
; IeeeMode: 1
; LDSByteSize: 0 bytes/workgroup (compile time only)
; SGPRBlocks: 5
; VGPRBlocks: 6
; NumSGPRsForWavesPerEU: 41
; NumVGPRsForWavesPerEU: 56
; Occupancy: 16
; WaveLimiterHint : 1
; COMPUTE_PGM_RSRC2:SCRATCH_EN: 0
; COMPUTE_PGM_RSRC2:USER_SGPR: 2
; COMPUTE_PGM_RSRC2:TRAP_HANDLER: 0
; COMPUTE_PGM_RSRC2:TGID_X_EN: 1
; COMPUTE_PGM_RSRC2:TGID_Y_EN: 0
; COMPUTE_PGM_RSRC2:TGID_Z_EN: 0
; COMPUTE_PGM_RSRC2:TIDIG_COMP_CNT: 0
	.text
	.p2alignl 7, 3214868480
	.fill 96, 4, 3214868480
	.type	__hip_cuid_a5ce743b4f4a4e44,@object ; @__hip_cuid_a5ce743b4f4a4e44
	.section	.bss,"aw",@nobits
	.globl	__hip_cuid_a5ce743b4f4a4e44
__hip_cuid_a5ce743b4f4a4e44:
	.byte	0                               ; 0x0
	.size	__hip_cuid_a5ce743b4f4a4e44, 1

	.ident	"AMD clang version 19.0.0git (https://github.com/RadeonOpenCompute/llvm-project roc-6.4.0 25133 c7fe45cf4b819c5991fe208aaa96edf142730f1d)"
	.section	".note.GNU-stack","",@progbits
	.addrsig
	.addrsig_sym __hip_cuid_a5ce743b4f4a4e44
	.amdgpu_metadata
---
amdhsa.kernels:
  - .args:
      - .actual_access:  read_only
        .address_space:  global
        .offset:         0
        .size:           8
        .value_kind:     global_buffer
      - .offset:         8
        .size:           8
        .value_kind:     by_value
      - .actual_access:  read_only
        .address_space:  global
        .offset:         16
        .size:           8
        .value_kind:     global_buffer
      - .actual_access:  read_only
        .address_space:  global
        .offset:         24
        .size:           8
        .value_kind:     global_buffer
      - .actual_access:  read_only
        .address_space:  global
        .offset:         32
        .size:           8
        .value_kind:     global_buffer
      - .offset:         40
        .size:           8
        .value_kind:     by_value
      - .actual_access:  read_only
        .address_space:  global
        .offset:         48
        .size:           8
        .value_kind:     global_buffer
      - .actual_access:  read_only
        .address_space:  global
        .offset:         56
        .size:           8
        .value_kind:     global_buffer
      - .offset:         64
        .size:           4
        .value_kind:     by_value
      - .actual_access:  read_only
        .address_space:  global
        .offset:         72
        .size:           8
        .value_kind:     global_buffer
      - .actual_access:  read_only
        .address_space:  global
        .offset:         80
        .size:           8
        .value_kind:     global_buffer
      - .actual_access:  read_only
        .address_space:  global
        .offset:         88
        .size:           8
        .value_kind:     global_buffer
      - .actual_access:  write_only
        .address_space:  global
        .offset:         96
        .size:           8
        .value_kind:     global_buffer
    .group_segment_fixed_size: 0
    .kernarg_segment_align: 8
    .kernarg_segment_size: 104
    .language:       OpenCL C
    .language_version:
      - 2
      - 0
    .max_flat_workgroup_size: 252
    .name:           fft_rtc_back_len588_factors_7_3_4_7_wgs_252_tpt_84_sp_op_CI_CI_unitstride_sbrr_R2C_dirReg
    .private_segment_fixed_size: 0
    .sgpr_count:     41
    .sgpr_spill_count: 0
    .symbol:         fft_rtc_back_len588_factors_7_3_4_7_wgs_252_tpt_84_sp_op_CI_CI_unitstride_sbrr_R2C_dirReg.kd
    .uniform_work_group_size: 1
    .uses_dynamic_stack: false
    .vgpr_count:     56
    .vgpr_spill_count: 0
    .wavefront_size: 32
    .workgroup_processor_mode: 1
amdhsa.target:   amdgcn-amd-amdhsa--gfx1201
amdhsa.version:
  - 1
  - 2
...

	.end_amdgpu_metadata
